;; amdgpu-corpus repo=ROCm/rocFFT kind=compiled arch=gfx1030 opt=O3
	.text
	.amdgcn_target "amdgcn-amd-amdhsa--gfx1030"
	.amdhsa_code_object_version 6
	.protected	fft_rtc_fwd_len1210_factors_2_5_11_11_wgs_110_tpt_110_halfLds_dp_ip_CI_unitstride_sbrr_dirReg ; -- Begin function fft_rtc_fwd_len1210_factors_2_5_11_11_wgs_110_tpt_110_halfLds_dp_ip_CI_unitstride_sbrr_dirReg
	.globl	fft_rtc_fwd_len1210_factors_2_5_11_11_wgs_110_tpt_110_halfLds_dp_ip_CI_unitstride_sbrr_dirReg
	.p2align	8
	.type	fft_rtc_fwd_len1210_factors_2_5_11_11_wgs_110_tpt_110_halfLds_dp_ip_CI_unitstride_sbrr_dirReg,@function
fft_rtc_fwd_len1210_factors_2_5_11_11_wgs_110_tpt_110_halfLds_dp_ip_CI_unitstride_sbrr_dirReg: ; @fft_rtc_fwd_len1210_factors_2_5_11_11_wgs_110_tpt_110_halfLds_dp_ip_CI_unitstride_sbrr_dirReg
; %bb.0:
	s_clause 0x2
	s_load_dwordx4 s[8:11], s[4:5], 0x0
	s_load_dwordx2 s[2:3], s[4:5], 0x50
	s_load_dwordx2 s[12:13], s[4:5], 0x18
	v_mul_u32_u24_e32 v1, 0x254, v0
	v_mov_b32_e32 v3, 0
	v_add_nc_u32_sdwa v5, s6, v1 dst_sel:DWORD dst_unused:UNUSED_PAD src0_sel:DWORD src1_sel:WORD_1
	v_mov_b32_e32 v1, 0
	v_mov_b32_e32 v6, v3
	v_mov_b32_e32 v2, 0
	s_waitcnt lgkmcnt(0)
	v_cmp_lt_u64_e64 s0, s[10:11], 2
	s_and_b32 vcc_lo, exec_lo, s0
	s_cbranch_vccnz .LBB0_8
; %bb.1:
	s_load_dwordx2 s[0:1], s[4:5], 0x10
	v_mov_b32_e32 v1, 0
	s_add_u32 s6, s12, 8
	v_mov_b32_e32 v2, 0
	s_addc_u32 s7, s13, 0
	s_mov_b64 s[16:17], 1
	s_waitcnt lgkmcnt(0)
	s_add_u32 s14, s0, 8
	s_addc_u32 s15, s1, 0
.LBB0_2:                                ; =>This Inner Loop Header: Depth=1
	s_load_dwordx2 s[18:19], s[14:15], 0x0
                                        ; implicit-def: $vgpr7_vgpr8
	s_mov_b32 s0, exec_lo
	s_waitcnt lgkmcnt(0)
	v_or_b32_e32 v4, s19, v6
	v_cmpx_ne_u64_e32 0, v[3:4]
	s_xor_b32 s1, exec_lo, s0
	s_cbranch_execz .LBB0_4
; %bb.3:                                ;   in Loop: Header=BB0_2 Depth=1
	v_cvt_f32_u32_e32 v4, s18
	v_cvt_f32_u32_e32 v7, s19
	s_sub_u32 s0, 0, s18
	s_subb_u32 s20, 0, s19
	v_fmac_f32_e32 v4, 0x4f800000, v7
	v_rcp_f32_e32 v4, v4
	v_mul_f32_e32 v4, 0x5f7ffffc, v4
	v_mul_f32_e32 v7, 0x2f800000, v4
	v_trunc_f32_e32 v7, v7
	v_fmac_f32_e32 v4, 0xcf800000, v7
	v_cvt_u32_f32_e32 v7, v7
	v_cvt_u32_f32_e32 v4, v4
	v_mul_lo_u32 v8, s0, v7
	v_mul_hi_u32 v9, s0, v4
	v_mul_lo_u32 v10, s20, v4
	v_add_nc_u32_e32 v8, v9, v8
	v_mul_lo_u32 v9, s0, v4
	v_add_nc_u32_e32 v8, v8, v10
	v_mul_hi_u32 v10, v4, v9
	v_mul_lo_u32 v11, v4, v8
	v_mul_hi_u32 v12, v4, v8
	v_mul_hi_u32 v13, v7, v9
	v_mul_lo_u32 v9, v7, v9
	v_mul_hi_u32 v14, v7, v8
	v_mul_lo_u32 v8, v7, v8
	v_add_co_u32 v10, vcc_lo, v10, v11
	v_add_co_ci_u32_e32 v11, vcc_lo, 0, v12, vcc_lo
	v_add_co_u32 v9, vcc_lo, v10, v9
	v_add_co_ci_u32_e32 v9, vcc_lo, v11, v13, vcc_lo
	v_add_co_ci_u32_e32 v10, vcc_lo, 0, v14, vcc_lo
	v_add_co_u32 v8, vcc_lo, v9, v8
	v_add_co_ci_u32_e32 v9, vcc_lo, 0, v10, vcc_lo
	v_add_co_u32 v4, vcc_lo, v4, v8
	v_add_co_ci_u32_e32 v7, vcc_lo, v7, v9, vcc_lo
	v_mul_hi_u32 v8, s0, v4
	v_mul_lo_u32 v10, s20, v4
	v_mul_lo_u32 v9, s0, v7
	v_add_nc_u32_e32 v8, v8, v9
	v_mul_lo_u32 v9, s0, v4
	v_add_nc_u32_e32 v8, v8, v10
	v_mul_hi_u32 v10, v4, v9
	v_mul_lo_u32 v11, v4, v8
	v_mul_hi_u32 v12, v4, v8
	v_mul_hi_u32 v13, v7, v9
	v_mul_lo_u32 v9, v7, v9
	v_mul_hi_u32 v14, v7, v8
	v_mul_lo_u32 v8, v7, v8
	v_add_co_u32 v10, vcc_lo, v10, v11
	v_add_co_ci_u32_e32 v11, vcc_lo, 0, v12, vcc_lo
	v_add_co_u32 v9, vcc_lo, v10, v9
	v_add_co_ci_u32_e32 v9, vcc_lo, v11, v13, vcc_lo
	v_add_co_ci_u32_e32 v10, vcc_lo, 0, v14, vcc_lo
	v_add_co_u32 v8, vcc_lo, v9, v8
	v_add_co_ci_u32_e32 v9, vcc_lo, 0, v10, vcc_lo
	v_add_co_u32 v4, vcc_lo, v4, v8
	v_add_co_ci_u32_e32 v11, vcc_lo, v7, v9, vcc_lo
	v_mul_hi_u32 v13, v5, v4
	v_mad_u64_u32 v[9:10], null, v6, v4, 0
	v_mad_u64_u32 v[7:8], null, v5, v11, 0
	;; [unrolled: 1-line block ×3, first 2 shown]
	v_add_co_u32 v4, vcc_lo, v13, v7
	v_add_co_ci_u32_e32 v7, vcc_lo, 0, v8, vcc_lo
	v_add_co_u32 v4, vcc_lo, v4, v9
	v_add_co_ci_u32_e32 v4, vcc_lo, v7, v10, vcc_lo
	v_add_co_ci_u32_e32 v7, vcc_lo, 0, v12, vcc_lo
	v_add_co_u32 v4, vcc_lo, v4, v11
	v_add_co_ci_u32_e32 v9, vcc_lo, 0, v7, vcc_lo
	v_mul_lo_u32 v10, s19, v4
	v_mad_u64_u32 v[7:8], null, s18, v4, 0
	v_mul_lo_u32 v11, s18, v9
	v_sub_co_u32 v7, vcc_lo, v5, v7
	v_add3_u32 v8, v8, v11, v10
	v_sub_nc_u32_e32 v10, v6, v8
	v_subrev_co_ci_u32_e64 v10, s0, s19, v10, vcc_lo
	v_add_co_u32 v11, s0, v4, 2
	v_add_co_ci_u32_e64 v12, s0, 0, v9, s0
	v_sub_co_u32 v13, s0, v7, s18
	v_sub_co_ci_u32_e32 v8, vcc_lo, v6, v8, vcc_lo
	v_subrev_co_ci_u32_e64 v10, s0, 0, v10, s0
	v_cmp_le_u32_e32 vcc_lo, s18, v13
	v_cmp_eq_u32_e64 s0, s19, v8
	v_cndmask_b32_e64 v13, 0, -1, vcc_lo
	v_cmp_le_u32_e32 vcc_lo, s19, v10
	v_cndmask_b32_e64 v14, 0, -1, vcc_lo
	v_cmp_le_u32_e32 vcc_lo, s18, v7
	;; [unrolled: 2-line block ×3, first 2 shown]
	v_cndmask_b32_e64 v15, 0, -1, vcc_lo
	v_cmp_eq_u32_e32 vcc_lo, s19, v10
	v_cndmask_b32_e64 v7, v15, v7, s0
	v_cndmask_b32_e32 v10, v14, v13, vcc_lo
	v_add_co_u32 v13, vcc_lo, v4, 1
	v_add_co_ci_u32_e32 v14, vcc_lo, 0, v9, vcc_lo
	v_cmp_ne_u32_e32 vcc_lo, 0, v10
	v_cndmask_b32_e32 v8, v14, v12, vcc_lo
	v_cndmask_b32_e32 v10, v13, v11, vcc_lo
	v_cmp_ne_u32_e32 vcc_lo, 0, v7
	v_cndmask_b32_e32 v8, v9, v8, vcc_lo
	v_cndmask_b32_e32 v7, v4, v10, vcc_lo
.LBB0_4:                                ;   in Loop: Header=BB0_2 Depth=1
	s_andn2_saveexec_b32 s0, s1
	s_cbranch_execz .LBB0_6
; %bb.5:                                ;   in Loop: Header=BB0_2 Depth=1
	v_cvt_f32_u32_e32 v4, s18
	s_sub_i32 s1, 0, s18
	v_rcp_iflag_f32_e32 v4, v4
	v_mul_f32_e32 v4, 0x4f7ffffe, v4
	v_cvt_u32_f32_e32 v4, v4
	v_mul_lo_u32 v7, s1, v4
	v_mul_hi_u32 v7, v4, v7
	v_add_nc_u32_e32 v4, v4, v7
	v_mul_hi_u32 v4, v5, v4
	v_mul_lo_u32 v7, v4, s18
	v_add_nc_u32_e32 v8, 1, v4
	v_sub_nc_u32_e32 v7, v5, v7
	v_subrev_nc_u32_e32 v9, s18, v7
	v_cmp_le_u32_e32 vcc_lo, s18, v7
	v_cndmask_b32_e32 v7, v7, v9, vcc_lo
	v_cndmask_b32_e32 v4, v4, v8, vcc_lo
	v_cmp_le_u32_e32 vcc_lo, s18, v7
	v_add_nc_u32_e32 v8, 1, v4
	v_cndmask_b32_e32 v7, v4, v8, vcc_lo
	v_mov_b32_e32 v8, v3
.LBB0_6:                                ;   in Loop: Header=BB0_2 Depth=1
	s_or_b32 exec_lo, exec_lo, s0
	s_load_dwordx2 s[0:1], s[6:7], 0x0
	v_mul_lo_u32 v4, v8, s18
	v_mul_lo_u32 v11, v7, s19
	v_mad_u64_u32 v[9:10], null, v7, s18, 0
	s_add_u32 s16, s16, 1
	s_addc_u32 s17, s17, 0
	s_add_u32 s6, s6, 8
	s_addc_u32 s7, s7, 0
	;; [unrolled: 2-line block ×3, first 2 shown]
	v_add3_u32 v4, v10, v11, v4
	v_sub_co_u32 v5, vcc_lo, v5, v9
	v_sub_co_ci_u32_e32 v4, vcc_lo, v6, v4, vcc_lo
	s_waitcnt lgkmcnt(0)
	v_mul_lo_u32 v6, s1, v5
	v_mul_lo_u32 v4, s0, v4
	v_mad_u64_u32 v[1:2], null, s0, v5, v[1:2]
	v_cmp_ge_u64_e64 s0, s[16:17], s[10:11]
	s_and_b32 vcc_lo, exec_lo, s0
	v_add3_u32 v2, v6, v2, v4
	s_cbranch_vccnz .LBB0_9
; %bb.7:                                ;   in Loop: Header=BB0_2 Depth=1
	v_mov_b32_e32 v5, v7
	v_mov_b32_e32 v6, v8
	s_branch .LBB0_2
.LBB0_8:
	v_mov_b32_e32 v8, v6
	v_mov_b32_e32 v7, v5
.LBB0_9:
	s_lshl_b64 s[0:1], s[10:11], 3
	v_mul_hi_u32 v3, 0x253c826, v0
	s_add_u32 s0, s12, s0
	s_addc_u32 s1, s13, s1
	v_mov_b32_e32 v82, 0
	s_load_dwordx2 s[0:1], s[0:1], 0x0
	s_load_dwordx2 s[4:5], s[4:5], 0x20
                                        ; implicit-def: $vgpr56_vgpr57
                                        ; implicit-def: $vgpr48_vgpr49
                                        ; implicit-def: $vgpr40_vgpr41
                                        ; implicit-def: $vgpr28_vgpr29
                                        ; implicit-def: $vgpr44_vgpr45
                                        ; implicit-def: $vgpr32_vgpr33
                                        ; implicit-def: $vgpr52_vgpr53
                                        ; implicit-def: $vgpr36_vgpr37
                                        ; implicit-def: $vgpr20_vgpr21
                                        ; implicit-def: $vgpr24_vgpr25
                                        ; implicit-def: $vgpr16_vgpr17
	v_mul_u32_u24_e32 v3, 0x6e, v3
	v_sub_nc_u32_e32 v83, v0, v3
	s_waitcnt lgkmcnt(0)
	v_mul_lo_u32 v4, s0, v8
	v_mul_lo_u32 v5, s1, v7
	v_mad_u64_u32 v[1:2], null, s0, v7, v[1:2]
	v_cmp_gt_u64_e32 vcc_lo, s[4:5], v[7:8]
                                        ; implicit-def: $vgpr6_vgpr7
	v_add3_u32 v2, v5, v2, v4
	v_lshlrev_b64 v[80:81], 4, v[1:2]
	s_and_saveexec_b32 s1, vcc_lo
	s_cbranch_execz .LBB0_13
; %bb.10:
	v_mov_b32_e32 v84, 0
	v_add_co_u32 v2, s0, s2, v80
	v_add_co_ci_u32_e64 v3, s0, s3, v81, s0
	v_lshlrev_b64 v[0:1], 4, v[83:84]
	s_mov_b32 s4, exec_lo
                                        ; implicit-def: $vgpr46_vgpr47
                                        ; implicit-def: $vgpr54_vgpr55
	v_add_co_u32 v0, s0, v2, v0
	v_add_co_ci_u32_e64 v1, s0, v3, v1, s0
	v_add_co_u32 v2, s0, 0x2000, v0
	v_add_co_ci_u32_e64 v3, s0, 0, v1, s0
	;; [unrolled: 2-line block ×3, first 2 shown]
	s_clause 0x3
	global_load_dwordx4 v[14:17], v[0:1], off
	global_load_dwordx4 v[4:7], v[0:1], off offset:1760
	global_load_dwordx4 v[22:25], v[2:3], off offset:1488
	;; [unrolled: 1-line block ×3, first 2 shown]
	v_add_co_u32 v8, s0, 0x800, v0
	v_add_co_ci_u32_e64 v9, s0, 0, v1, s0
	v_add_co_u32 v10, s0, 0x3000, v0
	v_add_co_ci_u32_e64 v11, s0, 0, v1, s0
	;; [unrolled: 2-line block ×6, first 2 shown]
	s_clause 0x5
	global_load_dwordx4 v[34:37], v[8:9], off offset:1472
	global_load_dwordx4 v[50:53], v[10:11], off offset:912
	;; [unrolled: 1-line block ×6, first 2 shown]
	v_cmpx_gt_u32_e32 55, v83
; %bb.11:
	v_add_co_u32 v0, s0, 0x4800, v0
	v_add_co_ci_u32_e64 v1, s0, 0, v1, s0
	s_clause 0x1
	global_load_dwordx4 v[46:49], v[2:3], off offset:608
	global_load_dwordx4 v[54:57], v[0:1], off offset:48
; %bb.12:
	s_or_b32 exec_lo, exec_lo, s4
	v_mov_b32_e32 v82, v83
.LBB0_13:
	s_or_b32 exec_lo, exec_lo, s1
	s_waitcnt vmcnt(7)
	v_add_f64 v[10:11], v[14:15], -v[22:23]
	s_waitcnt vmcnt(0)
	v_add_f64 v[2:3], v[46:47], -v[54:55]
	v_add_f64 v[60:61], v[4:5], -v[18:19]
	;; [unrolled: 1-line block ×5, first 2 shown]
	v_add_nc_u32_e32 v76, 0x6e, v83
	v_add_nc_u32_e32 v75, 0xdc, v83
	v_lshl_add_u32 v19, v83, 4, 0
	v_cmp_gt_u32_e64 s1, 55, v83
	v_lshl_add_u32 v18, v76, 4, 0
	v_fma_f64 v[8:9], v[14:15], 2.0, -v[10:11]
	v_fma_f64 v[0:1], v[46:47], 2.0, -v[2:3]
	;; [unrolled: 1-line block ×6, first 2 shown]
	v_add_nc_u32_e32 v4, 0x226, v83
	v_lshl_add_u32 v5, v75, 4, 0
	ds_write_b128 v19, v[8:11]
	ds_write_b128 v18, v[58:61]
	;; [unrolled: 1-line block ×3, first 2 shown]
	ds_write_b128 v19, v[66:69] offset:5280
	ds_write_b128 v19, v[70:73] offset:7040
	v_lshl_add_u32 v4, v4, 4, 0
	s_and_saveexec_b32 s0, s1
	s_cbranch_execz .LBB0_15
; %bb.14:
	ds_write_b128 v4, v[0:3]
.LBB0_15:
	s_or_b32 exec_lo, exec_lo, s0
	v_lshlrev_b32_e32 v8, 3, v83
	s_waitcnt lgkmcnt(0)
	s_barrier
	buffer_gl0_inv
	v_add_nc_u32_e32 v27, 0x14a0, v19
	v_sub_nc_u32_e32 v9, v19, v8
	v_sub_nc_u32_e32 v8, 0, v8
	v_add_nc_u32_e32 v26, 0x1b80, v19
	v_cmp_gt_u32_e64 s0, 22, v83
                                        ; implicit-def: $vgpr42_vgpr43
	v_add_nc_u32_e32 v10, 0x400, v9
	v_add_nc_u32_e32 v11, 0xc00, v9
	;; [unrolled: 1-line block ×4, first 2 shown]
	ds_read2_b64 v[12:15], v9 offset1:110
	ds_read2_b64 v[58:61], v10 offset0:114 offset1:224
	ds_read2_b64 v[70:73], v11 offset0:100 offset1:210
	;; [unrolled: 1-line block ×4, first 2 shown]
	v_add_nc_u32_e32 v88, v19, v8
                                        ; implicit-def: $vgpr10_vgpr11
	s_and_saveexec_b32 s4, s0
	s_cbranch_execz .LBB0_17
; %bb.16:
	v_add_nc_u32_e32 v0, 0x680, v88
	v_add_nc_u32_e32 v8, 0x1600, v88
	ds_read2_b64 v[0:3], v0 offset0:12 offset1:254
	ds_read2_b64 v[8:11], v8 offset1:242
	ds_read_b64 v[42:43], v88 offset:9504
.LBB0_17:
	s_or_b32 exec_lo, exec_lo, s4
	v_add_f64 v[46:47], v[16:17], -v[24:25]
	v_add_f64 v[22:23], v[48:49], -v[56:57]
	;; [unrolled: 1-line block ×6, first 2 shown]
	s_waitcnt lgkmcnt(0)
	s_barrier
	buffer_gl0_inv
	v_fma_f64 v[44:45], v[16:17], 2.0, -v[46:47]
	v_fma_f64 v[20:21], v[48:49], 2.0, -v[22:23]
	;; [unrolled: 1-line block ×6, first 2 shown]
	ds_write_b128 v19, v[44:47]
	ds_write_b128 v18, v[52:55]
	;; [unrolled: 1-line block ×5, first 2 shown]
	s_and_saveexec_b32 s4, s1
	s_cbranch_execz .LBB0_19
; %bb.18:
	ds_write_b128 v4, v[20:23]
.LBB0_19:
	s_or_b32 exec_lo, exec_lo, s4
	v_add_nc_u32_e32 v16, 0x400, v88
	v_add_nc_u32_e32 v17, 0xc00, v88
	;; [unrolled: 1-line block ×4, first 2 shown]
	s_waitcnt lgkmcnt(0)
	s_barrier
	buffer_gl0_inv
	ds_read2_b64 v[4:7], v88 offset1:110
	ds_read2_b64 v[28:31], v16 offset0:114 offset1:224
	ds_read2_b64 v[36:39], v17 offset0:100 offset1:210
	;; [unrolled: 1-line block ×4, first 2 shown]
                                        ; implicit-def: $vgpr40_vgpr41
                                        ; implicit-def: $vgpr18_vgpr19
	s_and_saveexec_b32 s1, s0
	s_cbranch_execz .LBB0_21
; %bb.20:
	v_add_nc_u32_e32 v16, 0x680, v88
	v_add_nc_u32_e32 v17, 0x1600, v88
	ds_read2_b64 v[20:23], v16 offset0:12 offset1:254
	ds_read2_b64 v[16:19], v17 offset1:242
	ds_read_b64 v[40:41], v88 offset:9504
.LBB0_21:
	s_or_b32 exec_lo, exec_lo, s1
	v_and_b32_e32 v74, 1, v83
	s_mov_b32 s10, 0x134454ff
	s_mov_b32 s11, 0x3fee6f0e
	;; [unrolled: 1-line block ×4, first 2 shown]
	v_lshlrev_b32_e32 v44, 6, v74
	s_mov_b32 s4, 0x4755a5e
	s_mov_b32 s5, 0x3fe2cf23
	;; [unrolled: 1-line block ×4, first 2 shown]
	s_clause 0x3
	global_load_dwordx4 v[84:87], v44, s[8:9] offset:16
	global_load_dwordx4 v[89:92], v44, s[8:9] offset:32
	global_load_dwordx4 v[93:96], v44, s[8:9]
	global_load_dwordx4 v[97:100], v44, s[8:9] offset:48
	s_mov_b32 s14, 0x372fe950
	s_mov_b32 s15, 0x3fd3c6ef
	s_waitcnt vmcnt(0) lgkmcnt(0)
	s_barrier
	buffer_gl0_inv
	v_mul_f64 v[44:45], v[36:37], v[86:87]
	v_mul_f64 v[50:51], v[24:25], v[91:92]
	;; [unrolled: 1-line block ×22, first 2 shown]
	v_fma_f64 v[48:49], v[70:71], v[84:85], -v[44:45]
	v_fma_f64 v[52:53], v[66:67], v[89:90], -v[50:51]
	;; [unrolled: 1-line block ×8, first 2 shown]
	v_mul_f64 v[131:132], v[40:41], v[99:100]
	v_fma_f64 v[46:47], v[28:29], v[93:94], v[115:116]
	v_fma_f64 v[28:29], v[32:33], v[97:98], v[119:120]
	;; [unrolled: 1-line block ×8, first 2 shown]
	v_mul_f64 v[99:100], v[42:43], v[99:100]
	v_add_f64 v[34:35], v[48:49], v[52:53]
	v_add_f64 v[68:69], v[12:13], v[56:57]
	;; [unrolled: 1-line block ×3, first 2 shown]
	v_add_f64 v[103:104], v[62:63], -v[52:53]
	v_add_f64 v[26:27], v[44:45], v[50:51]
	v_add_f64 v[77:78], v[14:15], v[54:55]
	;; [unrolled: 1-line block ×3, first 2 shown]
	v_add_f64 v[105:106], v[48:49], -v[56:57]
	v_add_f64 v[107:108], v[52:53], -v[62:63]
	;; [unrolled: 1-line block ×9, first 2 shown]
	v_fma_f64 v[42:43], v[42:43], v[97:98], -v[131:132]
	v_fma_f64 v[34:35], v[34:35], -0.5, v[12:13]
	v_add_f64 v[68:69], v[68:69], v[48:49]
	v_fma_f64 v[12:13], v[60:61], -0.5, v[12:13]
	v_add_f64 v[60:61], v[38:39], -v[64:65]
	v_fma_f64 v[26:27], v[26:27], -0.5, v[14:15]
	v_add_f64 v[77:78], v[77:78], v[44:45]
	v_fma_f64 v[14:15], v[66:67], -0.5, v[14:15]
	v_add_f64 v[66:67], v[56:57], -v[48:49]
	v_add_f64 v[105:106], v[105:106], v[107:108]
	v_add_f64 v[107:108], v[109:110], v[111:112]
	;; [unrolled: 1-line block ×3, first 2 shown]
	v_fma_f64 v[117:118], v[70:71], s[10:11], v[34:35]
	v_fma_f64 v[34:35], v[70:71], s[12:13], v[34:35]
	v_fma_f64 v[119:120], v[72:73], s[12:13], v[12:13]
	v_fma_f64 v[12:13], v[72:73], s[10:11], v[12:13]
	v_fma_f64 v[121:122], v[101:102], s[10:11], v[26:27]
	v_fma_f64 v[26:27], v[101:102], s[12:13], v[26:27]
	v_fma_f64 v[123:124], v[60:61], s[12:13], v[14:15]
	v_fma_f64 v[14:15], v[60:61], s[10:11], v[14:15]
	v_add_f64 v[103:104], v[66:67], v[103:104]
	v_add_f64 v[111:112], v[68:69], v[52:53]
	;; [unrolled: 1-line block ×3, first 2 shown]
	v_fma_f64 v[66:67], v[8:9], v[84:85], -v[125:126]
	v_fma_f64 v[68:69], v[10:11], v[89:90], -v[127:128]
	v_fma_f64 v[113:114], v[72:73], s[4:5], v[117:118]
	v_fma_f64 v[72:73], v[72:73], s[6:7], v[34:35]
	;; [unrolled: 1-line block ×10, first 2 shown]
	v_fma_f64 v[70:71], v[2:3], v[93:94], -v[129:130]
	v_fma_f64 v[60:61], v[22:23], v[93:94], v[95:96]
	v_add_f64 v[2:3], v[111:112], v[62:63]
	v_fma_f64 v[22:23], v[40:41], v[97:98], v[99:100]
	v_lshrrev_b32_e32 v121, 1, v83
	v_lshrrev_b32_e32 v122, 1, v76
	v_add_f64 v[8:9], v[77:78], v[58:59]
	v_mul_u32_u24_e32 v40, 10, v121
	v_mul_u32_u24_e32 v41, 10, v122
	v_fma_f64 v[10:11], v[103:104], s[14:15], v[113:114]
	v_fma_f64 v[18:19], v[103:104], s[14:15], v[72:73]
	;; [unrolled: 1-line block ×5, first 2 shown]
	v_or_b32_e32 v72, v40, v74
	v_fma_f64 v[78:79], v[109:110], s[14:15], v[119:120]
	v_fma_f64 v[14:15], v[109:110], s[14:15], v[14:15]
	;; [unrolled: 1-line block ×3, first 2 shown]
	v_or_b32_e32 v73, v41, v74
	v_lshrrev_b32_e32 v40, 1, v75
	v_lshl_add_u32 v41, v72, 3, 0
	v_lshl_add_u32 v72, v73, 3, 0
	ds_write2_b64 v41, v[2:3], v[10:11] offset1:2
	ds_write2_b64 v41, v[16:17], v[12:13] offset0:4 offset1:6
	ds_write_b64 v41, v[18:19] offset:64
	ds_write2_b64 v72, v[8:9], v[76:77] offset1:2
	ds_write2_b64 v72, v[78:79], v[14:15] offset0:4 offset1:6
	ds_write_b64 v72, v[84:85] offset:64
	s_and_saveexec_b32 s1, s0
	s_cbranch_execz .LBB0_23
; %bb.22:
	v_add_f64 v[2:3], v[70:71], v[42:43]
	v_add_f64 v[8:9], v[66:67], v[68:69]
	v_add_f64 v[12:13], v[60:61], -v[22:23]
	v_add_f64 v[14:15], v[0:1], v[70:71]
	v_add_f64 v[10:11], v[34:35], -v[26:27]
	v_add_f64 v[16:17], v[68:69], -v[42:43]
	;; [unrolled: 1-line block ×4, first 2 shown]
	v_fma_f64 v[2:3], v[2:3], -0.5, v[0:1]
	v_fma_f64 v[0:1], v[8:9], -0.5, v[0:1]
	v_add_f64 v[8:9], v[66:67], -v[70:71]
	v_add_f64 v[14:15], v[14:15], v[66:67]
	v_fma_f64 v[77:78], v[10:11], s[10:11], v[2:3]
	v_fma_f64 v[84:85], v[12:13], s[10:11], v[0:1]
	;; [unrolled: 1-line block ×4, first 2 shown]
	v_add_f64 v[8:9], v[8:9], v[16:17]
	v_add_f64 v[16:17], v[18:19], v[75:76]
	;; [unrolled: 1-line block ×3, first 2 shown]
	v_fma_f64 v[18:19], v[12:13], s[6:7], v[77:78]
	v_fma_f64 v[75:76], v[10:11], s[4:5], v[84:85]
	;; [unrolled: 1-line block ×4, first 2 shown]
	v_add_f64 v[10:11], v[14:15], v[42:43]
	v_fma_f64 v[12:13], v[8:9], s[14:15], v[18:19]
	v_fma_f64 v[14:15], v[16:17], s[14:15], v[75:76]
	;; [unrolled: 1-line block ×4, first 2 shown]
	v_mul_u32_u24_e32 v8, 10, v40
	v_or_b32_e32 v8, v8, v74
	v_lshl_add_u32 v8, v8, 3, 0
	ds_write2_b64 v8, v[10:11], v[14:15] offset1:2
	ds_write2_b64 v8, v[2:3], v[12:13] offset0:4 offset1:6
	ds_write_b64 v8, v[0:1] offset:64
.LBB0_23:
	s_or_b32 exec_lo, exec_lo, s1
	v_add_f64 v[0:1], v[36:37], v[32:33]
	v_add_f64 v[2:3], v[46:47], v[28:29]
	;; [unrolled: 1-line block ×5, first 2 shown]
	v_add_f64 v[14:15], v[56:57], -v[62:63]
	v_add_f64 v[16:17], v[48:49], -v[52:53]
	v_add_f64 v[18:19], v[6:7], v[30:31]
	v_add_f64 v[48:49], v[54:55], -v[58:59]
	v_add_f64 v[52:53], v[30:31], -v[38:39]
	;; [unrolled: 1-line block ×5, first 2 shown]
	v_lshl_add_u32 v89, v83, 3, 0
	v_add_nc_u32_e32 v90, 0x1400, v88
	v_add_nc_u32_e32 v91, 0x1800, v88
	s_waitcnt lgkmcnt(0)
	s_barrier
	v_add_nc_u32_e32 v92, 0x400, v89
	v_add_nc_u32_e32 v93, 0xc00, v89
	buffer_gl0_inv
	ds_read_b64 v[84:85], v88 offset:8800
	v_fma_f64 v[0:1], v[0:1], -0.5, v[4:5]
	v_fma_f64 v[2:3], v[2:3], -0.5, v[4:5]
	;; [unrolled: 1-line block ×3, first 2 shown]
	v_add_f64 v[4:5], v[44:45], -v[50:51]
	v_fma_f64 v[6:7], v[10:11], -0.5, v[6:7]
	v_add_f64 v[10:11], v[46:47], -v[36:37]
	v_add_f64 v[44:45], v[28:29], -v[32:33]
	;; [unrolled: 1-line block ×3, first 2 shown]
	v_add_f64 v[12:13], v[12:13], v[36:37]
	v_add_f64 v[50:51], v[32:33], -v[28:29]
	v_add_f64 v[18:19], v[18:19], v[38:39]
	v_add_f64 v[30:31], v[30:31], v[56:57]
	v_fma_f64 v[36:37], v[14:15], s[12:13], v[0:1]
	v_fma_f64 v[0:1], v[14:15], s[10:11], v[0:1]
	;; [unrolled: 1-line block ×8, first 2 shown]
	v_add_f64 v[10:11], v[10:11], v[44:45]
	v_add_f64 v[12:13], v[12:13], v[32:33]
	;; [unrolled: 1-line block ×5, first 2 shown]
	v_fma_f64 v[32:33], v[16:17], s[6:7], v[36:37]
	v_fma_f64 v[16:17], v[16:17], s[4:5], v[0:1]
	;; [unrolled: 1-line block ×8, first 2 shown]
	ds_read2_b64 v[0:3], v88 offset1:110
	v_add_f64 v[28:29], v[12:13], v[28:29]
	ds_read2_b64 v[4:7], v90 offset0:20 offset1:130
	v_add_f64 v[24:25], v[18:19], v[24:25]
	v_fma_f64 v[32:33], v[10:11], s[14:15], v[32:33]
	v_fma_f64 v[52:53], v[10:11], s[14:15], v[16:17]
	;; [unrolled: 1-line block ×6, first 2 shown]
	ds_read2_b64 v[12:15], v91 offset0:112 offset1:222
	ds_read2_b64 v[16:19], v92 offset0:92 offset1:202
	;; [unrolled: 1-line block ×3, first 2 shown]
	v_fma_f64 v[50:51], v[30:31], s[14:15], v[50:51]
	v_fma_f64 v[30:31], v[30:31], s[14:15], v[48:49]
	s_waitcnt lgkmcnt(0)
	s_barrier
	buffer_gl0_inv
	ds_write2_b64 v41, v[28:29], v[32:33] offset1:2
	ds_write2_b64 v41, v[36:37], v[44:45] offset0:4 offset1:6
	ds_write_b64 v41, v[52:53] offset:64
	ds_write2_b64 v72, v[24:25], v[38:39] offset1:2
	ds_write2_b64 v72, v[50:51], v[30:31] offset0:4 offset1:6
	ds_write_b64 v72, v[46:47] offset:64
	s_and_saveexec_b32 s1, s0
	s_cbranch_execz .LBB0_25
; %bb.24:
	v_add_f64 v[24:25], v[34:35], v[26:27]
	v_add_f64 v[28:29], v[60:61], v[22:23]
	;; [unrolled: 1-line block ×3, first 2 shown]
	v_add_f64 v[32:33], v[70:71], -v[42:43]
	v_add_f64 v[36:37], v[66:67], -v[68:69]
	s_mov_b32 s4, 0x134454ff
	s_mov_b32 s5, 0xbfee6f0e
	;; [unrolled: 1-line block ×4, first 2 shown]
	v_add_f64 v[38:39], v[22:23], -v[26:27]
	v_add_f64 v[41:42], v[34:35], -v[60:61]
	;; [unrolled: 1-line block ×3, first 2 shown]
	v_fma_f64 v[24:25], v[24:25], -0.5, v[20:21]
	v_fma_f64 v[20:21], v[28:29], -0.5, v[20:21]
	v_add_f64 v[28:29], v[60:61], -v[34:35]
	v_add_f64 v[30:31], v[30:31], v[34:35]
	v_fma_f64 v[34:35], v[32:33], s[4:5], v[24:25]
	v_fma_f64 v[45:46], v[36:37], s[6:7], v[20:21]
	;; [unrolled: 1-line block ×4, first 2 shown]
	s_mov_b32 s4, 0x4755a5e
	s_mov_b32 s5, 0xbfe2cf23
	;; [unrolled: 1-line block ×4, first 2 shown]
	v_add_f64 v[28:29], v[28:29], v[38:39]
	v_add_f64 v[26:27], v[30:31], v[26:27]
	;; [unrolled: 1-line block ×3, first 2 shown]
	v_fma_f64 v[30:31], v[36:37], s[4:5], v[34:35]
	v_fma_f64 v[34:35], v[32:33], s[4:5], v[45:46]
	;; [unrolled: 1-line block ×4, first 2 shown]
	s_mov_b32 s4, 0x372fe950
	s_mov_b32 s5, 0x3fd3c6ef
	v_add_f64 v[22:23], v[26:27], v[22:23]
	v_fma_f64 v[26:27], v[28:29], s[4:5], v[30:31]
	v_fma_f64 v[30:31], v[38:39], s[4:5], v[34:35]
	v_fma_f64 v[20:21], v[38:39], s[4:5], v[20:21]
	v_fma_f64 v[24:25], v[28:29], s[4:5], v[24:25]
	v_mul_u32_u24_e32 v28, 10, v40
	v_or_b32_e32 v28, v28, v74
	v_lshl_add_u32 v28, v28, 3, 0
	ds_write2_b64 v28, v[22:23], v[26:27] offset1:2
	ds_write2_b64 v28, v[30:31], v[20:21] offset0:4 offset1:6
	ds_write_b64 v28, v[24:25] offset:64
.LBB0_25:
	s_or_b32 exec_lo, exec_lo, s1
	v_and_b32_e32 v20, 0xff, v83
	v_mov_b32_e32 v21, 10
	s_waitcnt lgkmcnt(0)
	s_barrier
	buffer_gl0_inv
	v_mul_lo_u16 v20, 0xcd, v20
	v_mov_b32_e32 v116, 0x370
	v_mov_b32_e32 v117, 3
	s_mov_b32 s0, 0xf8bb580b
	s_mov_b32 s6, 0x8eee2c13
	v_lshrrev_b16 v94, 11, v20
	s_mov_b32 s10, 0x43842ef
	s_mov_b32 s12, 0xbb3a28a1
	;; [unrolled: 1-line block ×4, first 2 shown]
	v_mul_lo_u16 v20, v94, 10
	s_mov_b32 s7, 0xbfed1bb4
	s_mov_b32 s11, 0xbfefac9e
	;; [unrolled: 1-line block ×4, first 2 shown]
	v_sub_nc_u16 v95, v83, v20
	v_mul_u32_u24_sdwa v242, v94, v116 dst_sel:DWORD dst_unused:UNUSED_PAD src0_sel:WORD_0 src1_sel:DWORD
	s_mov_b32 s4, 0x8764f0ba
	s_mov_b32 s14, 0xd9c712b6
	;; [unrolled: 1-line block ×3, first 2 shown]
	v_mul_u32_u24_sdwa v20, v95, v21 dst_sel:DWORD dst_unused:UNUSED_PAD src0_sel:BYTE_0 src1_sel:DWORD
	v_lshlrev_b32_sdwa v243, v117, v95 dst_sel:DWORD dst_unused:UNUSED_PAD src0_sel:DWORD src1_sel:BYTE_0
	s_mov_b32 s18, 0x7f775887
	s_mov_b32 s22, 0x9bcd5057
	;; [unrolled: 1-line block ×3, first 2 shown]
	v_lshlrev_b32_e32 v20, 4, v20
	s_mov_b32 s15, 0x3fda9628
	s_mov_b32 s17, 0xbfc2375f
	;; [unrolled: 1-line block ×4, first 2 shown]
	s_clause 0x9
	global_load_dwordx4 v[24:27], v20, s[8:9] offset:128
	global_load_dwordx4 v[36:39], v20, s[8:9] offset:272
	;; [unrolled: 1-line block ×10, first 2 shown]
	ds_read2_b64 v[68:71], v92 offset0:92 offset1:202
	ds_read2_b64 v[20:23], v88 offset1:110
	ds_read2_b64 v[64:67], v93 offset0:56 offset1:166
	ds_read_b64 v[86:87], v88 offset:8800
	ds_read2_b64 v[72:75], v90 offset0:20 offset1:130
	ds_read2_b64 v[76:79], v91 offset0:112 offset1:222
	s_mov_b32 s25, 0x3fd207e7
	s_mov_b32 s27, 0x3fefac9e
	;; [unrolled: 1-line block ×8, first 2 shown]
	s_waitcnt vmcnt(0) lgkmcnt(0)
	s_barrier
	buffer_gl0_inv
	v_mul_f64 v[96:97], v[2:3], v[26:27]
	v_mul_f64 v[98:99], v[84:85], v[38:39]
	;; [unrolled: 1-line block ×20, first 2 shown]
	v_fma_f64 v[22:23], v[22:23], v[24:25], v[96:97]
	v_fma_f64 v[86:87], v[86:87], v[36:37], v[98:99]
	v_fma_f64 v[2:3], v[2:3], v[24:25], -v[26:27]
	v_fma_f64 v[24:25], v[84:85], v[36:37], -v[38:39]
	v_fma_f64 v[26:27], v[68:69], v[28:29], v[100:101]
	v_fma_f64 v[16:17], v[16:17], v[28:29], -v[30:31]
	v_fma_f64 v[8:9], v[8:9], v[48:49], -v[108:109]
	v_fma_f64 v[38:39], v[64:65], v[48:49], v[50:51]
	v_fma_f64 v[48:49], v[74:75], v[44:45], v[110:111]
	v_fma_f64 v[6:7], v[6:7], v[44:45], -v[46:47]
	v_fma_f64 v[4:5], v[4:5], v[32:33], -v[34:35]
	v_fma_f64 v[36:37], v[78:79], v[60:61], v[102:103]
	v_fma_f64 v[14:15], v[14:15], v[60:61], -v[62:63]
	v_fma_f64 v[10:11], v[10:11], v[40:41], -v[112:113]
	v_fma_f64 v[40:41], v[66:67], v[40:41], v[42:43]
	v_fma_f64 v[42:43], v[72:73], v[32:33], v[114:115]
	v_fma_f64 v[18:19], v[18:19], v[52:53], -v[104:105]
	v_fma_f64 v[28:29], v[70:71], v[52:53], v[54:55]
	v_fma_f64 v[30:31], v[76:77], v[56:57], v[106:107]
	v_fma_f64 v[12:13], v[12:13], v[56:57], -v[58:59]
	v_add_f64 v[32:33], v[22:23], -v[86:87]
	v_add_f64 v[46:47], v[22:23], v[86:87]
	v_add_f64 v[34:35], v[2:3], -v[24:25]
	v_add_f64 v[44:45], v[2:3], v[24:25]
	v_add_f64 v[2:3], v[0:1], v[2:3]
	;; [unrolled: 1-line block ×3, first 2 shown]
	v_add_f64 v[66:67], v[38:39], -v[48:49]
	v_add_f64 v[70:71], v[8:9], -v[6:7]
	v_add_f64 v[68:69], v[8:9], v[6:7]
	v_add_f64 v[72:73], v[38:39], v[48:49]
	v_add_f64 v[50:51], v[26:27], -v[36:37]
	v_add_f64 v[52:53], v[16:17], v[14:15]
	v_add_f64 v[54:55], v[16:17], -v[14:15]
	v_add_f64 v[78:79], v[10:11], -v[4:5]
	;; [unrolled: 1-line block ×3, first 2 shown]
	v_add_f64 v[56:57], v[26:27], v[36:37]
	v_add_f64 v[76:77], v[10:11], v[4:5]
	v_add_f64 v[58:59], v[28:29], -v[30:31]
	v_add_f64 v[62:63], v[18:19], -v[12:13]
	v_add_f64 v[60:61], v[18:19], v[12:13]
	v_add_f64 v[64:65], v[28:29], v[30:31]
	v_mul_f64 v[94:95], v[32:33], s[0:1]
	v_mul_f64 v[96:97], v[32:33], s[6:7]
	;; [unrolled: 1-line block ×4, first 2 shown]
	v_add_f64 v[2:3], v[2:3], v[16:17]
	v_add_f64 v[16:17], v[22:23], v[26:27]
	v_mul_f64 v[32:33], v[32:33], s[20:21]
	v_add_f64 v[84:85], v[40:41], v[42:43]
	v_mul_f64 v[102:103], v[34:35], s[0:1]
	v_mul_f64 v[104:105], v[34:35], s[6:7]
	;; [unrolled: 1-line block ×18, first 2 shown]
	v_add_f64 v[2:3], v[2:3], v[18:19]
	v_add_f64 v[16:17], v[16:17], v[28:29]
	v_mul_f64 v[128:129], v[58:59], s[0:1]
	v_mul_f64 v[58:59], v[58:59], s[12:13]
	v_mul_f64 v[130:131], v[62:63], s[10:11]
	v_mul_f64 v[132:133], v[62:63], s[24:25]
	v_mul_f64 v[134:135], v[62:63], s[30:31]
	v_mul_f64 v[136:137], v[62:63], s[0:1]
	v_mul_f64 v[62:63], v[62:63], s[12:13]
	v_mul_f64 v[138:139], v[66:67], s[12:13]
	v_mul_f64 v[140:141], v[66:67], s[26:27]
	v_mul_f64 v[142:143], v[66:67], s[0:1]
	v_mul_f64 v[144:145], v[66:67], s[20:21]
	v_mul_f64 v[66:67], v[66:67], s[30:31]
	v_mul_f64 v[146:147], v[70:71], s[12:13]
	v_mul_f64 v[148:149], v[70:71], s[26:27]
	v_mul_f64 v[150:151], v[70:71], s[0:1]
	v_mul_f64 v[152:153], v[70:71], s[20:21]
	v_mul_f64 v[70:71], v[70:71], s[30:31]
	v_mul_f64 v[154:155], v[74:75], s[20:21]
	v_mul_f64 v[156:157], v[74:75], s[28:29]
	v_mul_f64 v[158:159], v[74:75], s[12:13]
	v_add_f64 v[2:3], v[2:3], v[8:9]
	v_mul_f64 v[160:161], v[74:75], s[30:31]
	v_mul_f64 v[74:75], v[74:75], s[10:11]
	v_mul_f64 v[162:163], v[78:79], s[20:21]
	v_mul_f64 v[164:165], v[78:79], s[28:29]
	v_mul_f64 v[166:167], v[78:79], s[12:13]
	v_mul_f64 v[168:169], v[78:79], s[30:31]
	v_mul_f64 v[78:79], v[78:79], s[10:11]
	v_fma_f64 v[170:171], v[44:45], s[4:5], -v[94:95]
	v_fma_f64 v[94:95], v[44:45], s[4:5], v[94:95]
	v_fma_f64 v[172:173], v[44:45], s[14:15], -v[96:97]
	v_fma_f64 v[96:97], v[44:45], s[14:15], v[96:97]
	;; [unrolled: 2-line block ×5, first 2 shown]
	v_add_f64 v[16:17], v[16:17], v[38:39]
	v_fma_f64 v[44:45], v[46:47], s[4:5], v[102:103]
	v_fma_f64 v[102:103], v[46:47], s[4:5], -v[102:103]
	v_fma_f64 v[180:181], v[46:47], s[14:15], v[104:105]
	v_add_f64 v[2:3], v[2:3], v[10:11]
	v_fma_f64 v[104:105], v[46:47], s[14:15], -v[104:105]
	v_fma_f64 v[182:183], v[46:47], s[16:17], v[106:107]
	v_fma_f64 v[106:107], v[46:47], s[16:17], -v[106:107]
	v_fma_f64 v[184:185], v[46:47], s[18:19], v[108:109]
	v_fma_f64 v[108:109], v[46:47], s[18:19], -v[108:109]
	v_fma_f64 v[186:187], v[46:47], s[22:23], v[34:35]
	v_fma_f64 v[34:35], v[46:47], s[22:23], -v[34:35]
	v_fma_f64 v[46:47], v[52:53], s[14:15], -v[110:111]
	v_fma_f64 v[110:111], v[52:53], s[14:15], v[110:111]
	v_fma_f64 v[188:189], v[52:53], s[18:19], -v[112:113]
	v_fma_f64 v[112:113], v[52:53], s[18:19], v[112:113]
	v_fma_f64 v[190:191], v[52:53], s[22:23], -v[114:115]
	v_fma_f64 v[114:115], v[52:53], s[22:23], v[114:115]
	v_fma_f64 v[192:193], v[52:53], s[16:17], -v[116:117]
	v_fma_f64 v[116:117], v[52:53], s[16:17], v[116:117]
	v_fma_f64 v[194:195], v[52:53], s[4:5], -v[50:51]
	v_fma_f64 v[50:51], v[52:53], s[4:5], v[50:51]
	v_fma_f64 v[52:53], v[56:57], s[14:15], v[22:23]
	v_fma_f64 v[22:23], v[56:57], s[14:15], -v[22:23]
	v_fma_f64 v[196:197], v[56:57], s[18:19], v[26:27]
	v_fma_f64 v[26:27], v[56:57], s[18:19], -v[26:27]
	v_fma_f64 v[198:199], v[56:57], s[22:23], v[118:119]
	v_fma_f64 v[118:119], v[56:57], s[22:23], -v[118:119]
	v_fma_f64 v[200:201], v[56:57], s[16:17], v[120:121]
	v_fma_f64 v[120:121], v[56:57], s[16:17], -v[120:121]
	v_fma_f64 v[202:203], v[56:57], s[4:5], v[54:55]
	v_fma_f64 v[54:55], v[56:57], s[4:5], -v[54:55]
	v_fma_f64 v[56:57], v[60:61], s[16:17], -v[122:123]
	v_fma_f64 v[122:123], v[60:61], s[16:17], v[122:123]
	v_fma_f64 v[204:205], v[60:61], s[22:23], -v[124:125]
	v_fma_f64 v[124:125], v[60:61], s[22:23], v[124:125]
	v_fma_f64 v[206:207], v[60:61], s[14:15], -v[126:127]
	v_fma_f64 v[126:127], v[60:61], s[14:15], v[126:127]
	v_fma_f64 v[208:209], v[60:61], s[4:5], -v[128:129]
	v_fma_f64 v[128:129], v[60:61], s[4:5], v[128:129]
	v_fma_f64 v[210:211], v[60:61], s[18:19], -v[58:59]
	v_fma_f64 v[58:59], v[60:61], s[18:19], v[58:59]
	v_fma_f64 v[18:19], v[64:65], s[16:17], v[130:131]
	v_fma_f64 v[28:29], v[64:65], s[16:17], -v[130:131]
	v_fma_f64 v[60:61], v[64:65], s[22:23], v[132:133]
	;; [unrolled: 20-line block ×4, first 2 shown]
	v_fma_f64 v[162:163], v[84:85], s[4:5], -v[164:165]
	v_fma_f64 v[164:165], v[84:85], s[18:19], v[166:167]
	v_fma_f64 v[166:167], v[84:85], s[18:19], -v[166:167]
	v_fma_f64 v[238:239], v[84:85], s[14:15], v[168:169]
	;; [unrolled: 2-line block ×3, first 2 shown]
	v_fma_f64 v[78:79], v[84:85], s[16:17], -v[78:79]
	v_add_f64 v[84:85], v[0:1], v[170:171]
	v_add_f64 v[170:171], v[0:1], v[172:173]
	;; [unrolled: 1-line block ×100, first 2 shown]
	v_add3_u32 v58, 0, v242, v243
	v_add_f64 v[24:25], v[10:11], v[4:5]
	v_add_f64 v[36:37], v[74:75], v[6:7]
	;; [unrolled: 1-line block ×6, first 2 shown]
	ds_write2_b64 v58, v[34:35], v[42:43] offset0:20 offset1:30
	ds_write2_b64 v58, v[44:45], v[48:49] offset0:40 offset1:50
	;; [unrolled: 1-line block ×4, first 2 shown]
	ds_write_b64 v58, v[0:1] offset:800
	ds_write2_b64 v58, v[2:3], v[30:31] offset1:10
	v_add_f64 v[32:33], v[16:17], v[86:87]
	s_waitcnt lgkmcnt(0)
	s_barrier
	buffer_gl0_inv
	ds_read2_b64 v[0:3], v88 offset1:110
	ds_read2_b64 v[4:7], v92 offset0:92 offset1:202
	ds_read2_b64 v[16:19], v93 offset0:56 offset1:166
	;; [unrolled: 1-line block ×4, first 2 shown]
	ds_read_b64 v[48:49], v88 offset:8800
	v_add_f64 v[22:23], v[238:239], v[22:23]
	v_add_f64 v[28:29], v[240:241], v[28:29]
	v_add_f64 v[26:27], v[168:169], v[26:27]
	v_add_f64 v[20:21], v[78:79], v[20:21]
	s_waitcnt lgkmcnt(0)
	s_barrier
	buffer_gl0_inv
	ds_write2_b64 v58, v[32:33], v[24:25] offset1:10
	ds_write2_b64 v58, v[50:51], v[54:55] offset0:20 offset1:30
	ds_write2_b64 v58, v[22:23], v[28:29] offset0:40 offset1:50
	;; [unrolled: 1-line block ×4, first 2 shown]
	ds_write_b64 v58, v[36:37] offset:800
	s_waitcnt lgkmcnt(0)
	s_barrier
	buffer_gl0_inv
	s_and_saveexec_b32 s33, vcc_lo
	s_cbranch_execz .LBB0_27
; %bb.26:
	v_mul_u32_u24_e32 v20, 10, v83
	v_add_nc_u32_e32 v74, 0x400, v89
	v_add_nc_u32_e32 v66, 0xc00, v89
	;; [unrolled: 1-line block ×3, first 2 shown]
	v_mov_b32_e32 v83, 0
	v_lshlrev_b32_e32 v58, 4, v20
	v_add_co_u32 v80, vcc_lo, s2, v80
	v_add_nc_u32_e32 v86, 0x1800, v88
	v_lshlrev_b64 v[78:79], 4, v[82:83]
	s_clause 0x9
	global_load_dwordx4 v[24:27], v58, s[8:9] offset:1792
	global_load_dwordx4 v[20:23], v58, s[8:9] offset:1808
	;; [unrolled: 1-line block ×10, first 2 shown]
	ds_read2_b64 v[62:65], v88 offset1:110
	ds_read_b64 v[84:85], v88 offset:8800
	ds_read2_b64 v[66:69], v66 offset0:56 offset1:166
	ds_read2_b64 v[70:73], v70 offset0:20 offset1:130
	;; [unrolled: 1-line block ×3, first 2 shown]
	v_add_co_ci_u32_e32 v81, vcc_lo, s3, v81, vcc_lo
	v_add_co_u32 v82, vcc_lo, v80, v78
	s_mov_b32 s9, 0x3fe82f19
	v_add_co_ci_u32_e32 v83, vcc_lo, v81, v79, vcc_lo
	ds_read2_b64 v[78:81], v86 offset0:112 offset1:222
	s_mov_b32 s8, s12
	v_add_co_u32 v86, vcc_lo, 0x800, v82
	v_add_co_ci_u32_e32 v87, vcc_lo, 0, v83, vcc_lo
	v_add_co_u32 v88, vcc_lo, 0x1000, v82
	v_add_co_ci_u32_e32 v89, vcc_lo, 0, v83, vcc_lo
	;; [unrolled: 2-line block ×3, first 2 shown]
	s_waitcnt vmcnt(9)
	v_mul_f64 v[90:91], v[18:19], v[26:27]
	s_waitcnt lgkmcnt(3)
	v_mul_f64 v[26:27], v[68:69], v[26:27]
	s_waitcnt vmcnt(7)
	v_mul_f64 v[94:95], v[16:17], v[34:35]
	s_waitcnt vmcnt(6)
	;; [unrolled: 2-line block ×4, first 2 shown]
	v_mul_f64 v[100:101], v[8:9], v[38:39]
	s_waitcnt lgkmcnt(1)
	v_mul_f64 v[42:43], v[76:77], v[42:43]
	v_mul_f64 v[92:93], v[12:13], v[22:23]
	s_waitcnt vmcnt(1)
	v_mul_f64 v[106:107], v[2:3], v[56:57]
	s_waitcnt vmcnt(0)
	v_mul_f64 v[108:109], v[48:49], v[60:61]
	v_mul_f64 v[56:57], v[64:65], v[56:57]
	;; [unrolled: 1-line block ×6, first 2 shown]
	s_waitcnt lgkmcnt(0)
	v_mul_f64 v[38:39], v[78:79], v[38:39]
	v_mul_f64 v[46:47], v[74:75], v[46:47]
	;; [unrolled: 1-line block ×5, first 2 shown]
	v_fma_f64 v[68:69], v[68:69], v[24:25], v[90:91]
	v_fma_f64 v[18:19], v[18:19], v[24:25], -v[26:27]
	v_fma_f64 v[24:25], v[66:67], v[32:33], v[94:95]
	v_fma_f64 v[26:27], v[72:73], v[28:29], v[96:97]
	v_fma_f64 v[66:67], v[76:77], v[40:41], v[98:99]
	v_fma_f64 v[72:73], v[78:79], v[36:37], v[100:101]
	v_fma_f64 v[6:7], v[6:7], v[40:41], -v[42:43]
	v_fma_f64 v[70:71], v[70:71], v[20:21], v[92:93]
	v_fma_f64 v[64:65], v[64:65], v[54:55], v[106:107]
	;; [unrolled: 1-line block ×3, first 2 shown]
	v_fma_f64 v[2:3], v[2:3], v[54:55], -v[56:57]
	v_fma_f64 v[40:41], v[48:49], v[58:59], -v[60:61]
	;; [unrolled: 1-line block ×3, first 2 shown]
	v_fma_f64 v[74:75], v[74:75], v[44:45], v[102:103]
	v_fma_f64 v[14:15], v[14:15], v[28:29], -v[30:31]
	v_fma_f64 v[8:9], v[8:9], v[36:37], -v[38:39]
	;; [unrolled: 1-line block ×4, first 2 shown]
	v_fma_f64 v[76:77], v[80:81], v[50:51], v[104:105]
	v_fma_f64 v[10:11], v[10:11], v[50:51], -v[52:53]
	v_add_co_u32 v44, vcc_lo, 0x2000, v82
	v_add_co_ci_u32_e32 v45, vcc_lo, 0, v83, vcc_lo
	v_add_co_u32 v46, vcc_lo, 0x2800, v82
	v_add_f64 v[22:23], v[24:25], v[26:27]
	v_add_f64 v[28:29], v[66:67], v[72:73]
	v_add_f64 v[36:37], v[24:25], -v[26:27]
	v_add_f64 v[20:21], v[68:69], v[70:71]
	v_add_f64 v[34:35], v[68:69], -v[70:71]
	;; [unrolled: 2-line block ×3, first 2 shown]
	v_add_f64 v[58:59], v[2:3], -v[40:41]
	v_add_f64 v[92:93], v[2:3], v[40:41]
	v_add_f64 v[64:65], v[62:63], v[64:65]
	;; [unrolled: 1-line block ×3, first 2 shown]
	v_add_f64 v[54:55], v[6:7], -v[8:9]
	v_add_f64 v[38:39], v[66:67], -v[72:73]
	;; [unrolled: 1-line block ×3, first 2 shown]
	v_add_f64 v[30:31], v[74:75], v[76:77]
	v_add_f64 v[42:43], v[74:75], -v[76:77]
	v_add_f64 v[52:53], v[16:17], -v[14:15]
	;; [unrolled: 1-line block ×3, first 2 shown]
	v_add_f64 v[80:81], v[16:17], v[14:15]
	v_add_f64 v[90:91], v[4:5], v[10:11]
	;; [unrolled: 1-line block ×4, first 2 shown]
	v_mul_f64 v[96:97], v[22:23], s[14:15]
	v_mul_f64 v[98:99], v[28:29], s[18:19]
	;; [unrolled: 1-line block ×9, first 2 shown]
	v_add_f64 v[64:65], v[74:75], v[64:65]
	v_add_f64 v[2:3], v[4:5], v[2:3]
	v_mul_f64 v[136:137], v[20:21], s[18:19]
	v_mul_f64 v[140:141], v[28:29], s[14:15]
	;; [unrolled: 1-line block ×20, first 2 shown]
	v_add_f64 v[64:65], v[66:67], v[64:65]
	v_add_f64 v[2:3], v[6:7], v[2:3]
	v_mul_f64 v[142:143], v[30:31], s[22:23]
	v_mul_f64 v[148:149], v[36:37], s[0:1]
	;; [unrolled: 1-line block ×11, first 2 shown]
	v_fma_f64 v[4:5], v[50:51], s[26:27], v[94:95]
	v_fma_f64 v[176:177], v[54:55], s[8:9], v[98:99]
	;; [unrolled: 1-line block ×9, first 2 shown]
	v_add_f64 v[24:25], v[24:25], v[64:65]
	v_add_f64 v[2:3], v[16:17], v[2:3]
	v_fma_f64 v[116:117], v[50:51], s[30:31], v[116:117]
	v_fma_f64 v[120:121], v[54:55], s[0:1], v[120:121]
	;; [unrolled: 1-line block ×22, first 2 shown]
	v_fma_f64 v[48:49], v[92:93], s[4:5], -v[48:49]
	v_mul_f64 v[104:105], v[34:35], s[10:11]
	v_mul_f64 v[108:109], v[38:39], s[12:13]
	;; [unrolled: 1-line block ×10, first 2 shown]
	v_fma_f64 v[190:191], v[92:93], s[22:23], v[114:115]
	v_fma_f64 v[114:115], v[92:93], s[22:23], -v[114:115]
	v_fma_f64 v[210:211], v[92:93], s[18:19], v[134:135]
	v_fma_f64 v[134:135], v[92:93], s[18:19], -v[134:135]
	;; [unrolled: 2-line block ×4, first 2 shown]
	v_add_f64 v[24:25], v[68:69], v[24:25]
	v_add_f64 v[2:3], v[18:19], v[2:3]
	v_fma_f64 v[74:75], v[52:53], s[6:7], v[96:97]
	v_fma_f64 v[184:185], v[80:81], s[14:15], v[106:107]
	v_fma_f64 v[96:97], v[52:53], s[30:31], v[96:97]
	v_fma_f64 v[106:107], v[80:81], s[14:15], -v[106:107]
	v_fma_f64 v[194:195], v[52:53], s[24:25], v[118:119]
	v_fma_f64 v[204:205], v[80:81], s[22:23], v[128:129]
	v_fma_f64 v[118:119], v[52:53], s[20:21], v[118:119]
	v_fma_f64 v[128:129], v[80:81], s[22:23], -v[128:129]
	;; [unrolled: 4-line block ×4, first 2 shown]
	v_fma_f64 v[16:17], v[52:53], s[8:9], v[22:23]
	v_fma_f64 v[22:23], v[52:53], s[12:13], v[22:23]
	;; [unrolled: 1-line block ×5, first 2 shown]
	v_fma_f64 v[36:37], v[80:81], s[18:19], -v[36:37]
	v_fma_f64 v[80:81], v[90:91], s[14:15], v[42:43]
	v_fma_f64 v[42:43], v[90:91], s[14:15], -v[42:43]
	v_add_f64 v[32:33], v[62:63], v[32:33]
	v_add_f64 v[48:49], v[0:1], v[48:49]
	v_fma_f64 v[178:179], v[56:57], s[0:1], v[100:101]
	v_fma_f64 v[182:183], v[60:61], s[16:17], v[104:105]
	v_fma_f64 v[186:187], v[84:85], s[18:19], v[108:109]
	v_fma_f64 v[188:189], v[90:91], s[4:5], v[112:113]
	v_fma_f64 v[100:101], v[56:57], s[28:29], v[100:101]
	v_fma_f64 v[104:105], v[60:61], s[16:17], -v[104:105]
	v_fma_f64 v[108:109], v[84:85], s[18:19], -v[108:109]
	v_fma_f64 v[112:113], v[90:91], s[4:5], -v[112:113]
	v_fma_f64 v[198:199], v[56:57], s[10:11], v[122:123]
	v_fma_f64 v[202:203], v[60:61], s[14:15], v[126:127]
	v_fma_f64 v[206:207], v[84:85], s[4:5], v[130:131]
	v_fma_f64 v[208:209], v[90:91], s[16:17], v[132:133]
	v_fma_f64 v[122:123], v[56:57], s[26:27], v[122:123]
	v_fma_f64 v[126:127], v[60:61], s[14:15], -v[126:127]
	v_fma_f64 v[130:131], v[84:85], s[4:5], -v[130:131]
	v_fma_f64 v[132:133], v[90:91], s[16:17], -v[132:133]
	;; [unrolled: 8-line block ×4, first 2 shown]
	v_fma_f64 v[56:57], v[60:61], s[22:23], v[34:35]
	v_fma_f64 v[34:35], v[60:61], s[22:23], -v[34:35]
	v_fma_f64 v[60:61], v[84:85], s[16:17], v[38:39]
	v_fma_f64 v[38:39], v[84:85], s[16:17], -v[38:39]
	v_add_f64 v[18:19], v[62:63], v[180:181]
	v_add_f64 v[68:69], v[0:1], v[190:191]
	;; [unrolled: 1-line block ×108, first 2 shown]
	v_add_co_ci_u32_e32 v47, vcc_lo, 0, v83, vcc_lo
	v_add_co_u32 v48, vcc_lo, 0x3000, v82
	v_add_co_ci_u32_e32 v49, vcc_lo, 0, v83, vcc_lo
	v_add_co_u32 v50, vcc_lo, 0x3800, v82
	;; [unrolled: 2-line block ×3, first 2 shown]
	v_add_co_ci_u32_e32 v53, vcc_lo, 0, v83, vcc_lo
	global_store_dwordx4 v[82:83], v[28:31], off offset:1760
	global_store_dwordx4 v[86:87], v[24:27], off offset:1472
	;; [unrolled: 1-line block ×9, first 2 shown]
	global_store_dwordx4 v[82:83], v[40:43], off
	global_store_dwordx4 v[52:53], v[36:39], off offset:1216
.LBB0_27:
	s_endpgm
	.section	.rodata,"a",@progbits
	.p2align	6, 0x0
	.amdhsa_kernel fft_rtc_fwd_len1210_factors_2_5_11_11_wgs_110_tpt_110_halfLds_dp_ip_CI_unitstride_sbrr_dirReg
		.amdhsa_group_segment_fixed_size 0
		.amdhsa_private_segment_fixed_size 0
		.amdhsa_kernarg_size 88
		.amdhsa_user_sgpr_count 6
		.amdhsa_user_sgpr_private_segment_buffer 1
		.amdhsa_user_sgpr_dispatch_ptr 0
		.amdhsa_user_sgpr_queue_ptr 0
		.amdhsa_user_sgpr_kernarg_segment_ptr 1
		.amdhsa_user_sgpr_dispatch_id 0
		.amdhsa_user_sgpr_flat_scratch_init 0
		.amdhsa_user_sgpr_private_segment_size 0
		.amdhsa_wavefront_size32 1
		.amdhsa_uses_dynamic_stack 0
		.amdhsa_system_sgpr_private_segment_wavefront_offset 0
		.amdhsa_system_sgpr_workgroup_id_x 1
		.amdhsa_system_sgpr_workgroup_id_y 0
		.amdhsa_system_sgpr_workgroup_id_z 0
		.amdhsa_system_sgpr_workgroup_info 0
		.amdhsa_system_vgpr_workitem_id 0
		.amdhsa_next_free_vgpr 248
		.amdhsa_next_free_sgpr 34
		.amdhsa_reserve_vcc 1
		.amdhsa_reserve_flat_scratch 0
		.amdhsa_float_round_mode_32 0
		.amdhsa_float_round_mode_16_64 0
		.amdhsa_float_denorm_mode_32 3
		.amdhsa_float_denorm_mode_16_64 3
		.amdhsa_dx10_clamp 1
		.amdhsa_ieee_mode 1
		.amdhsa_fp16_overflow 0
		.amdhsa_workgroup_processor_mode 1
		.amdhsa_memory_ordered 1
		.amdhsa_forward_progress 0
		.amdhsa_shared_vgpr_count 0
		.amdhsa_exception_fp_ieee_invalid_op 0
		.amdhsa_exception_fp_denorm_src 0
		.amdhsa_exception_fp_ieee_div_zero 0
		.amdhsa_exception_fp_ieee_overflow 0
		.amdhsa_exception_fp_ieee_underflow 0
		.amdhsa_exception_fp_ieee_inexact 0
		.amdhsa_exception_int_div_zero 0
	.end_amdhsa_kernel
	.text
.Lfunc_end0:
	.size	fft_rtc_fwd_len1210_factors_2_5_11_11_wgs_110_tpt_110_halfLds_dp_ip_CI_unitstride_sbrr_dirReg, .Lfunc_end0-fft_rtc_fwd_len1210_factors_2_5_11_11_wgs_110_tpt_110_halfLds_dp_ip_CI_unitstride_sbrr_dirReg
                                        ; -- End function
	.section	.AMDGPU.csdata,"",@progbits
; Kernel info:
; codeLenInByte = 10948
; NumSgprs: 36
; NumVgprs: 248
; ScratchSize: 0
; MemoryBound: 1
; FloatMode: 240
; IeeeMode: 1
; LDSByteSize: 0 bytes/workgroup (compile time only)
; SGPRBlocks: 4
; VGPRBlocks: 30
; NumSGPRsForWavesPerEU: 36
; NumVGPRsForWavesPerEU: 248
; Occupancy: 4
; WaveLimiterHint : 1
; COMPUTE_PGM_RSRC2:SCRATCH_EN: 0
; COMPUTE_PGM_RSRC2:USER_SGPR: 6
; COMPUTE_PGM_RSRC2:TRAP_HANDLER: 0
; COMPUTE_PGM_RSRC2:TGID_X_EN: 1
; COMPUTE_PGM_RSRC2:TGID_Y_EN: 0
; COMPUTE_PGM_RSRC2:TGID_Z_EN: 0
; COMPUTE_PGM_RSRC2:TIDIG_COMP_CNT: 0
	.text
	.p2alignl 6, 3214868480
	.fill 48, 4, 3214868480
	.type	__hip_cuid_7da39b40999d0cd6,@object ; @__hip_cuid_7da39b40999d0cd6
	.section	.bss,"aw",@nobits
	.globl	__hip_cuid_7da39b40999d0cd6
__hip_cuid_7da39b40999d0cd6:
	.byte	0                               ; 0x0
	.size	__hip_cuid_7da39b40999d0cd6, 1

	.ident	"AMD clang version 19.0.0git (https://github.com/RadeonOpenCompute/llvm-project roc-6.4.0 25133 c7fe45cf4b819c5991fe208aaa96edf142730f1d)"
	.section	".note.GNU-stack","",@progbits
	.addrsig
	.addrsig_sym __hip_cuid_7da39b40999d0cd6
	.amdgpu_metadata
---
amdhsa.kernels:
  - .args:
      - .actual_access:  read_only
        .address_space:  global
        .offset:         0
        .size:           8
        .value_kind:     global_buffer
      - .offset:         8
        .size:           8
        .value_kind:     by_value
      - .actual_access:  read_only
        .address_space:  global
        .offset:         16
        .size:           8
        .value_kind:     global_buffer
      - .actual_access:  read_only
        .address_space:  global
        .offset:         24
        .size:           8
        .value_kind:     global_buffer
      - .offset:         32
        .size:           8
        .value_kind:     by_value
      - .actual_access:  read_only
        .address_space:  global
        .offset:         40
        .size:           8
        .value_kind:     global_buffer
      - .actual_access:  read_only
        .address_space:  global
        .offset:         48
        .size:           8
        .value_kind:     global_buffer
      - .offset:         56
        .size:           4
        .value_kind:     by_value
      - .actual_access:  read_only
        .address_space:  global
        .offset:         64
        .size:           8
        .value_kind:     global_buffer
      - .actual_access:  read_only
        .address_space:  global
        .offset:         72
        .size:           8
        .value_kind:     global_buffer
      - .address_space:  global
        .offset:         80
        .size:           8
        .value_kind:     global_buffer
    .group_segment_fixed_size: 0
    .kernarg_segment_align: 8
    .kernarg_segment_size: 88
    .language:       OpenCL C
    .language_version:
      - 2
      - 0
    .max_flat_workgroup_size: 110
    .name:           fft_rtc_fwd_len1210_factors_2_5_11_11_wgs_110_tpt_110_halfLds_dp_ip_CI_unitstride_sbrr_dirReg
    .private_segment_fixed_size: 0
    .sgpr_count:     36
    .sgpr_spill_count: 0
    .symbol:         fft_rtc_fwd_len1210_factors_2_5_11_11_wgs_110_tpt_110_halfLds_dp_ip_CI_unitstride_sbrr_dirReg.kd
    .uniform_work_group_size: 1
    .uses_dynamic_stack: false
    .vgpr_count:     248
    .vgpr_spill_count: 0
    .wavefront_size: 32
    .workgroup_processor_mode: 1
amdhsa.target:   amdgcn-amd-amdhsa--gfx1030
amdhsa.version:
  - 1
  - 2
...

	.end_amdgpu_metadata
